;; amdgpu-corpus repo=ROCm/rocFFT kind=compiled arch=gfx1030 opt=O3
	.text
	.amdgcn_target "amdgcn-amd-amdhsa--gfx1030"
	.amdhsa_code_object_version 6
	.protected	fft_rtc_back_len650_factors_10_5_13_wgs_195_tpt_65_sp_op_CI_CI_unitstride_sbrr_C2R_dirReg ; -- Begin function fft_rtc_back_len650_factors_10_5_13_wgs_195_tpt_65_sp_op_CI_CI_unitstride_sbrr_C2R_dirReg
	.globl	fft_rtc_back_len650_factors_10_5_13_wgs_195_tpt_65_sp_op_CI_CI_unitstride_sbrr_C2R_dirReg
	.p2align	8
	.type	fft_rtc_back_len650_factors_10_5_13_wgs_195_tpt_65_sp_op_CI_CI_unitstride_sbrr_C2R_dirReg,@function
fft_rtc_back_len650_factors_10_5_13_wgs_195_tpt_65_sp_op_CI_CI_unitstride_sbrr_C2R_dirReg: ; @fft_rtc_back_len650_factors_10_5_13_wgs_195_tpt_65_sp_op_CI_CI_unitstride_sbrr_C2R_dirReg
; %bb.0:
	s_load_dwordx4 s[12:15], s[4:5], 0x0
	v_mul_u32_u24_e32 v1, 0x3f1, v0
	s_clause 0x1
	s_load_dwordx4 s[8:11], s[4:5], 0x58
	s_load_dwordx4 s[16:19], s[4:5], 0x18
	v_mov_b32_e32 v5, 0
	v_lshrrev_b32_e32 v3, 16, v1
	v_mov_b32_e32 v1, 0
	v_mov_b32_e32 v2, 0
	v_mad_u64_u32 v[3:4], null, s6, 3, v[3:4]
	v_mov_b32_e32 v4, v5
	v_mov_b32_e32 v29, v2
	;; [unrolled: 1-line block ×5, first 2 shown]
	s_waitcnt lgkmcnt(0)
	v_cmp_lt_u64_e64 s0, s[14:15], 2
	s_and_b32 vcc_lo, exec_lo, s0
	s_cbranch_vccnz .LBB0_8
; %bb.1:
	s_load_dwordx2 s[0:1], s[4:5], 0x10
	v_mov_b32_e32 v1, 0
	v_mov_b32_e32 v2, 0
	s_add_u32 s2, s18, 8
	v_mov_b32_e32 v8, v4
	s_addc_u32 s3, s19, 0
	v_mov_b32_e32 v7, v3
	v_mov_b32_e32 v29, v2
	s_add_u32 s6, s16, 8
	v_mov_b32_e32 v28, v1
	s_addc_u32 s7, s17, 0
	s_mov_b64 s[22:23], 1
	s_waitcnt lgkmcnt(0)
	s_add_u32 s20, s0, 8
	s_addc_u32 s21, s1, 0
.LBB0_2:                                ; =>This Inner Loop Header: Depth=1
	s_load_dwordx2 s[24:25], s[20:21], 0x0
                                        ; implicit-def: $vgpr30_vgpr31
	s_mov_b32 s0, exec_lo
	s_waitcnt lgkmcnt(0)
	v_or_b32_e32 v6, s25, v8
	v_cmpx_ne_u64_e32 0, v[5:6]
	s_xor_b32 s1, exec_lo, s0
	s_cbranch_execz .LBB0_4
; %bb.3:                                ;   in Loop: Header=BB0_2 Depth=1
	v_cvt_f32_u32_e32 v4, s24
	v_cvt_f32_u32_e32 v6, s25
	s_sub_u32 s0, 0, s24
	s_subb_u32 s26, 0, s25
	v_fmac_f32_e32 v4, 0x4f800000, v6
	v_rcp_f32_e32 v4, v4
	v_mul_f32_e32 v4, 0x5f7ffffc, v4
	v_mul_f32_e32 v6, 0x2f800000, v4
	v_trunc_f32_e32 v6, v6
	v_fmac_f32_e32 v4, 0xcf800000, v6
	v_cvt_u32_f32_e32 v6, v6
	v_cvt_u32_f32_e32 v4, v4
	v_mul_lo_u32 v9, s0, v6
	v_mul_hi_u32 v10, s0, v4
	v_mul_lo_u32 v11, s26, v4
	v_add_nc_u32_e32 v9, v10, v9
	v_mul_lo_u32 v10, s0, v4
	v_add_nc_u32_e32 v9, v9, v11
	v_mul_hi_u32 v11, v4, v10
	v_mul_lo_u32 v12, v4, v9
	v_mul_hi_u32 v13, v4, v9
	v_mul_hi_u32 v14, v6, v10
	v_mul_lo_u32 v10, v6, v10
	v_mul_hi_u32 v15, v6, v9
	v_mul_lo_u32 v9, v6, v9
	v_add_co_u32 v11, vcc_lo, v11, v12
	v_add_co_ci_u32_e32 v12, vcc_lo, 0, v13, vcc_lo
	v_add_co_u32 v10, vcc_lo, v11, v10
	v_add_co_ci_u32_e32 v10, vcc_lo, v12, v14, vcc_lo
	v_add_co_ci_u32_e32 v11, vcc_lo, 0, v15, vcc_lo
	v_add_co_u32 v9, vcc_lo, v10, v9
	v_add_co_ci_u32_e32 v10, vcc_lo, 0, v11, vcc_lo
	v_add_co_u32 v4, vcc_lo, v4, v9
	v_add_co_ci_u32_e32 v6, vcc_lo, v6, v10, vcc_lo
	v_mul_hi_u32 v9, s0, v4
	v_mul_lo_u32 v11, s26, v4
	v_mul_lo_u32 v10, s0, v6
	v_add_nc_u32_e32 v9, v9, v10
	v_mul_lo_u32 v10, s0, v4
	v_add_nc_u32_e32 v9, v9, v11
	v_mul_hi_u32 v11, v4, v10
	v_mul_lo_u32 v12, v4, v9
	v_mul_hi_u32 v13, v4, v9
	v_mul_hi_u32 v14, v6, v10
	v_mul_lo_u32 v10, v6, v10
	v_mul_hi_u32 v15, v6, v9
	v_mul_lo_u32 v9, v6, v9
	v_add_co_u32 v11, vcc_lo, v11, v12
	v_add_co_ci_u32_e32 v12, vcc_lo, 0, v13, vcc_lo
	v_add_co_u32 v10, vcc_lo, v11, v10
	v_add_co_ci_u32_e32 v10, vcc_lo, v12, v14, vcc_lo
	v_add_co_ci_u32_e32 v11, vcc_lo, 0, v15, vcc_lo
	v_add_co_u32 v9, vcc_lo, v10, v9
	v_add_co_ci_u32_e32 v10, vcc_lo, 0, v11, vcc_lo
	v_add_co_u32 v4, vcc_lo, v4, v9
	v_add_co_ci_u32_e32 v6, vcc_lo, v6, v10, vcc_lo
	v_mul_hi_u32 v15, v7, v4
	v_mad_u64_u32 v[11:12], null, v8, v4, 0
	v_mad_u64_u32 v[9:10], null, v7, v6, 0
	;; [unrolled: 1-line block ×3, first 2 shown]
	v_add_co_u32 v4, vcc_lo, v15, v9
	v_add_co_ci_u32_e32 v6, vcc_lo, 0, v10, vcc_lo
	v_add_co_u32 v4, vcc_lo, v4, v11
	v_add_co_ci_u32_e32 v4, vcc_lo, v6, v12, vcc_lo
	v_add_co_ci_u32_e32 v6, vcc_lo, 0, v14, vcc_lo
	v_add_co_u32 v4, vcc_lo, v4, v13
	v_add_co_ci_u32_e32 v6, vcc_lo, 0, v6, vcc_lo
	v_mul_lo_u32 v11, s25, v4
	v_mad_u64_u32 v[9:10], null, s24, v4, 0
	v_mul_lo_u32 v12, s24, v6
	v_sub_co_u32 v9, vcc_lo, v7, v9
	v_add3_u32 v10, v10, v12, v11
	v_sub_nc_u32_e32 v11, v8, v10
	v_subrev_co_ci_u32_e64 v11, s0, s25, v11, vcc_lo
	v_add_co_u32 v12, s0, v4, 2
	v_add_co_ci_u32_e64 v13, s0, 0, v6, s0
	v_sub_co_u32 v14, s0, v9, s24
	v_sub_co_ci_u32_e32 v10, vcc_lo, v8, v10, vcc_lo
	v_subrev_co_ci_u32_e64 v11, s0, 0, v11, s0
	v_cmp_le_u32_e32 vcc_lo, s24, v14
	v_cmp_eq_u32_e64 s0, s25, v10
	v_cndmask_b32_e64 v14, 0, -1, vcc_lo
	v_cmp_le_u32_e32 vcc_lo, s25, v11
	v_cndmask_b32_e64 v15, 0, -1, vcc_lo
	v_cmp_le_u32_e32 vcc_lo, s24, v9
	;; [unrolled: 2-line block ×3, first 2 shown]
	v_cndmask_b32_e64 v16, 0, -1, vcc_lo
	v_cmp_eq_u32_e32 vcc_lo, s25, v11
	v_cndmask_b32_e64 v9, v16, v9, s0
	v_cndmask_b32_e32 v11, v15, v14, vcc_lo
	v_add_co_u32 v14, vcc_lo, v4, 1
	v_add_co_ci_u32_e32 v15, vcc_lo, 0, v6, vcc_lo
	v_cmp_ne_u32_e32 vcc_lo, 0, v11
	v_cndmask_b32_e32 v10, v15, v13, vcc_lo
	v_cndmask_b32_e32 v11, v14, v12, vcc_lo
	v_cmp_ne_u32_e32 vcc_lo, 0, v9
	v_cndmask_b32_e32 v31, v6, v10, vcc_lo
	v_cndmask_b32_e32 v30, v4, v11, vcc_lo
.LBB0_4:                                ;   in Loop: Header=BB0_2 Depth=1
	s_andn2_saveexec_b32 s0, s1
	s_cbranch_execz .LBB0_6
; %bb.5:                                ;   in Loop: Header=BB0_2 Depth=1
	v_cvt_f32_u32_e32 v4, s24
	s_sub_i32 s1, 0, s24
	v_mov_b32_e32 v31, v5
	v_rcp_iflag_f32_e32 v4, v4
	v_mul_f32_e32 v4, 0x4f7ffffe, v4
	v_cvt_u32_f32_e32 v4, v4
	v_mul_lo_u32 v6, s1, v4
	v_mul_hi_u32 v6, v4, v6
	v_add_nc_u32_e32 v4, v4, v6
	v_mul_hi_u32 v4, v7, v4
	v_mul_lo_u32 v6, v4, s24
	v_add_nc_u32_e32 v9, 1, v4
	v_sub_nc_u32_e32 v6, v7, v6
	v_subrev_nc_u32_e32 v10, s24, v6
	v_cmp_le_u32_e32 vcc_lo, s24, v6
	v_cndmask_b32_e32 v6, v6, v10, vcc_lo
	v_cndmask_b32_e32 v4, v4, v9, vcc_lo
	v_cmp_le_u32_e32 vcc_lo, s24, v6
	v_add_nc_u32_e32 v9, 1, v4
	v_cndmask_b32_e32 v30, v4, v9, vcc_lo
.LBB0_6:                                ;   in Loop: Header=BB0_2 Depth=1
	s_or_b32 exec_lo, exec_lo, s0
	v_mul_lo_u32 v4, v31, s24
	v_mul_lo_u32 v6, v30, s25
	s_load_dwordx2 s[0:1], s[6:7], 0x0
	v_mad_u64_u32 v[9:10], null, v30, s24, 0
	s_load_dwordx2 s[24:25], s[2:3], 0x0
	s_add_u32 s22, s22, 1
	s_addc_u32 s23, s23, 0
	s_add_u32 s2, s2, 8
	s_addc_u32 s3, s3, 0
	s_add_u32 s6, s6, 8
	v_add3_u32 v4, v10, v6, v4
	v_sub_co_u32 v6, vcc_lo, v7, v9
	s_addc_u32 s7, s7, 0
	s_add_u32 s20, s20, 8
	v_sub_co_ci_u32_e32 v4, vcc_lo, v8, v4, vcc_lo
	s_addc_u32 s21, s21, 0
	s_waitcnt lgkmcnt(0)
	v_mul_lo_u32 v7, s0, v4
	v_mul_lo_u32 v8, s1, v6
	v_mad_u64_u32 v[1:2], null, s0, v6, v[1:2]
	v_mul_lo_u32 v4, s24, v4
	v_mul_lo_u32 v9, s25, v6
	v_mad_u64_u32 v[28:29], null, s24, v6, v[28:29]
	v_cmp_ge_u64_e64 s0, s[22:23], s[14:15]
	v_add3_u32 v2, v8, v2, v7
	v_add3_u32 v29, v9, v29, v4
	s_and_b32 vcc_lo, exec_lo, s0
	s_cbranch_vccnz .LBB0_8
; %bb.7:                                ;   in Loop: Header=BB0_2 Depth=1
	v_mov_b32_e32 v7, v30
	v_mov_b32_e32 v8, v31
	s_branch .LBB0_2
.LBB0_8:
	s_load_dwordx2 s[0:1], s[4:5], 0x28
	v_mul_hi_u32 v4, 0xaaaaaaab, v3
	v_mul_hi_u32 v5, 0x3f03f04, v0
	s_lshl_b64 s[4:5], s[14:15], 3
                                        ; implicit-def: $vgpr32
	s_add_u32 s2, s18, s4
	s_addc_u32 s3, s19, s5
	v_lshrrev_b32_e32 v4, 1, v4
	v_lshl_add_u32 v4, v4, 1, v4
	v_sub_nc_u32_e32 v3, v3, v4
	s_waitcnt lgkmcnt(0)
	v_cmp_gt_u64_e32 vcc_lo, s[0:1], v[30:31]
	v_cmp_le_u64_e64 s0, s[0:1], v[30:31]
	s_and_saveexec_b32 s1, s0
	s_xor_b32 s0, exec_lo, s1
; %bb.9:
	v_mul_u32_u24_e32 v1, 0x41, v5
                                        ; implicit-def: $vgpr5
	v_sub_nc_u32_e32 v32, v0, v1
                                        ; implicit-def: $vgpr0
                                        ; implicit-def: $vgpr1_vgpr2
; %bb.10:
	s_or_saveexec_b32 s1, s0
	s_load_dwordx2 s[2:3], s[2:3], 0x0
	v_mul_u32_u24_e32 v3, 0x28b, v3
	v_lshlrev_b32_e32 v4, 3, v3
	s_xor_b32 exec_lo, exec_lo, s1
	s_cbranch_execz .LBB0_14
; %bb.11:
	s_add_u32 s4, s16, s4
	s_addc_u32 s5, s17, s5
	v_lshlrev_b64 v[1:2], 3, v[1:2]
	s_load_dwordx2 s[4:5], s[4:5], 0x0
	s_waitcnt lgkmcnt(0)
	v_mul_lo_u32 v8, s5, v30
	v_mul_lo_u32 v9, s4, v31
	v_mad_u64_u32 v[6:7], null, s4, v30, 0
	s_mov_b32 s4, exec_lo
	v_add3_u32 v7, v7, v9, v8
	v_mul_u32_u24_e32 v8, 0x41, v5
	v_lshlrev_b64 v[5:6], 3, v[6:7]
	v_sub_nc_u32_e32 v32, v0, v8
	v_lshlrev_b32_e32 v25, 3, v32
	v_add_co_u32 v0, s0, s8, v5
	v_add_co_ci_u32_e64 v5, s0, s9, v6, s0
	v_add_co_u32 v0, s0, v0, v1
	v_add_co_ci_u32_e64 v1, s0, v5, v2, s0
	v_add3_u32 v2, 0, v4, v25
	v_add_co_u32 v5, s0, v0, v25
	v_add_co_ci_u32_e64 v6, s0, 0, v1, s0
	s_clause 0x3
	global_load_dwordx2 v[7:8], v[5:6], off
	global_load_dwordx2 v[9:10], v[5:6], off offset:520
	global_load_dwordx2 v[11:12], v[5:6], off offset:1040
	;; [unrolled: 1-line block ×3, first 2 shown]
	v_add_co_u32 v15, s0, 0x800, v5
	v_add_co_ci_u32_e64 v16, s0, 0, v6, s0
	v_add_co_u32 v5, s0, 0x1000, v5
	v_add_co_ci_u32_e64 v6, s0, 0, v6, s0
	s_clause 0x5
	global_load_dwordx2 v[17:18], v[15:16], off offset:32
	global_load_dwordx2 v[19:20], v[15:16], off offset:552
	;; [unrolled: 1-line block ×6, first 2 shown]
	v_add_nc_u32_e32 v25, 0x800, v2
	v_add_nc_u32_e32 v26, 0x1000, v2
	s_waitcnt vmcnt(8)
	ds_write2_b64 v2, v[7:8], v[9:10] offset1:65
	s_waitcnt vmcnt(6)
	ds_write2_b64 v2, v[11:12], v[13:14] offset0:130 offset1:195
	s_waitcnt vmcnt(4)
	ds_write2_b64 v25, v[17:18], v[19:20] offset0:4 offset1:69
	;; [unrolled: 2-line block ×4, first 2 shown]
	v_cmpx_eq_u32_e32 64, v32
	s_cbranch_execz .LBB0_13
; %bb.12:
	v_add_co_u32 v0, s0, 0x1000, v0
	v_add_co_ci_u32_e64 v1, s0, 0, v1, s0
	v_mov_b32_e32 v32, 64
	global_load_dwordx2 v[0:1], v[0:1], off offset:1104
	s_waitcnt vmcnt(0)
	ds_write_b64 v2, v[0:1] offset:4688
.LBB0_13:
	s_or_b32 exec_lo, exec_lo, s4
.LBB0_14:
	s_or_b32 exec_lo, exec_lo, s1
	v_lshl_add_u32 v34, v3, 3, 0
	v_lshlrev_b32_e32 v6, 3, v32
	s_waitcnt lgkmcnt(0)
	s_barrier
	buffer_gl0_inv
	s_add_u32 s1, s12, 0x1400
	v_add_nc_u32_e32 v35, v34, v6
	v_sub_nc_u32_e32 v5, v34, v6
	s_addc_u32 s4, s13, 0
	s_mov_b32 s5, exec_lo
	ds_read_b32 v7, v35
	ds_read_b32 v8, v5 offset:5200
                                        ; implicit-def: $vgpr2_vgpr3
	s_waitcnt lgkmcnt(0)
	v_add_f32_e32 v0, v8, v7
	v_sub_f32_e32 v1, v7, v8
	v_cmpx_ne_u32_e32 0, v32
	s_xor_b32 s5, exec_lo, s5
	s_cbranch_execz .LBB0_16
; %bb.15:
	v_mov_b32_e32 v33, 0
	v_add_f32_e32 v9, v8, v7
	v_sub_f32_e32 v10, v7, v8
	v_lshlrev_b64 v[0:1], 3, v[32:33]
	v_add_co_u32 v0, s0, s1, v0
	v_add_co_ci_u32_e64 v1, s0, s4, v1, s0
	global_load_dwordx2 v[2:3], v[0:1], off
	ds_read_b32 v0, v5 offset:5204
	ds_read_b32 v1, v35 offset:4
	s_waitcnt lgkmcnt(0)
	v_add_f32_e32 v11, v0, v1
	v_sub_f32_e32 v0, v1, v0
	s_waitcnt vmcnt(0)
	v_fma_f32 v7, -v10, v3, v9
	v_fma_f32 v8, v11, v3, -v0
	v_fma_f32 v12, v10, v3, v9
	v_fma_f32 v1, v11, v3, v0
	v_fmac_f32_e32 v7, v2, v11
	v_fmac_f32_e32 v8, v10, v2
	v_fma_f32 v0, -v2, v11, v12
	v_fmac_f32_e32 v1, v10, v2
	v_mov_b32_e32 v2, v32
	v_mov_b32_e32 v3, v33
	ds_write_b64 v5, v[7:8] offset:5200
.LBB0_16:
	s_andn2_saveexec_b32 s0, s5
	s_cbranch_execz .LBB0_18
; %bb.17:
	ds_read_b64 v[2:3], v34 offset:2600
	s_waitcnt lgkmcnt(0)
	v_add_f32_e32 v7, v2, v2
	v_mul_f32_e32 v8, -2.0, v3
	v_mov_b32_e32 v2, 0
	v_mov_b32_e32 v3, 0
	ds_write_b64 v34, v[7:8] offset:2600
.LBB0_18:
	s_or_b32 exec_lo, exec_lo, s0
	v_lshlrev_b64 v[2:3], 3, v[2:3]
	v_add3_u32 v33, 0, v6, v4
	v_and_b32_e32 v6, 0xff, v32
	v_mov_b32_e32 v26, 5
	v_mad_u32_u24 v36, 0x48, v32, v33
	v_add_co_u32 v2, s0, s1, v2
	v_add_co_ci_u32_e64 v3, s0, s4, v3, s0
	s_clause 0x2
	global_load_dwordx2 v[7:8], v[2:3], off offset:520
	global_load_dwordx2 v[9:10], v[2:3], off offset:1040
	;; [unrolled: 1-line block ×3, first 2 shown]
	v_add_co_u32 v2, s0, 0x800, v2
	v_add_co_ci_u32_e64 v3, s0, 0, v3, s0
	ds_write_b64 v35, v[0:1]
	v_cmp_gt_u32_e64 s0, 50, v32
	global_load_dwordx2 v[2:3], v[2:3], off offset:32
	ds_read_b64 v[0:1], v35 offset:520
	ds_read_b64 v[13:14], v5 offset:4680
	s_waitcnt lgkmcnt(0)
	v_add_f32_e32 v15, v0, v13
	v_add_f32_e32 v16, v14, v1
	v_sub_f32_e32 v17, v0, v13
	v_sub_f32_e32 v0, v1, v14
	s_waitcnt vmcnt(3)
	v_fma_f32 v18, v17, v8, v15
	v_fma_f32 v1, v16, v8, v0
	v_fma_f32 v13, -v17, v8, v15
	v_fma_f32 v14, v16, v8, -v0
	v_fma_f32 v0, -v7, v16, v18
	v_fmac_f32_e32 v1, v17, v7
	v_fmac_f32_e32 v13, v7, v16
	;; [unrolled: 1-line block ×3, first 2 shown]
	ds_write_b64 v35, v[0:1] offset:520
	ds_write_b64 v5, v[13:14] offset:4680
	ds_read_b64 v[0:1], v35 offset:1040
	ds_read_b64 v[7:8], v5 offset:4160
	s_waitcnt lgkmcnt(0)
	v_add_f32_e32 v13, v0, v7
	v_add_f32_e32 v14, v8, v1
	v_sub_f32_e32 v15, v0, v7
	v_sub_f32_e32 v0, v1, v8
	s_waitcnt vmcnt(2)
	v_fma_f32 v16, v15, v10, v13
	v_fma_f32 v1, v14, v10, v0
	v_fma_f32 v7, -v15, v10, v13
	v_fma_f32 v8, v14, v10, -v0
	v_fma_f32 v0, -v9, v14, v16
	v_fmac_f32_e32 v1, v15, v9
	v_fmac_f32_e32 v7, v9, v14
	;; [unrolled: 1-line block ×3, first 2 shown]
	ds_write_b64 v35, v[0:1] offset:1040
	ds_write_b64 v5, v[7:8] offset:4160
	ds_read_b64 v[0:1], v35 offset:1560
	ds_read_b64 v[7:8], v5 offset:3640
	v_add_nc_u32_e32 v16, 0xc00, v33
	s_waitcnt lgkmcnt(0)
	v_add_f32_e32 v9, v0, v7
	v_add_f32_e32 v10, v8, v1
	v_sub_f32_e32 v13, v0, v7
	v_sub_f32_e32 v0, v1, v8
	s_waitcnt vmcnt(1)
	v_fma_f32 v14, v13, v12, v9
	v_fma_f32 v1, v10, v12, v0
	v_fma_f32 v7, -v13, v12, v9
	v_fma_f32 v8, v10, v12, -v0
	v_add_nc_u16 v9, v32, 0x41
	v_fma_f32 v0, -v11, v10, v14
	v_fmac_f32_e32 v1, v13, v11
	v_fmac_f32_e32 v7, v11, v10
	v_fmac_f32_e32 v8, v13, v11
	ds_write_b64 v35, v[0:1] offset:1560
	ds_write_b64 v5, v[7:8] offset:3640
	ds_read_b64 v[0:1], v35 offset:2080
	ds_read_b64 v[7:8], v5 offset:3120
	v_add_nc_u32_e32 v11, 0x400, v33
	v_add_nc_u32_e32 v10, 0x800, v33
	s_waitcnt lgkmcnt(0)
	v_add_f32_e32 v12, v0, v7
	v_add_f32_e32 v13, v8, v1
	v_sub_f32_e32 v14, v0, v7
	v_sub_f32_e32 v0, v1, v8
	v_mul_lo_u16 v8, 0xcd, v6
	s_waitcnt vmcnt(0)
	v_fma_f32 v15, v14, v3, v12
	v_fma_f32 v1, v13, v3, v0
	v_fma_f32 v6, -v14, v3, v12
	v_fma_f32 v7, v13, v3, -v0
	v_and_b32_e32 v3, 0xff, v9
	v_lshrrev_b16 v24, 11, v8
	v_fma_f32 v0, -v2, v13, v15
	v_fmac_f32_e32 v1, v14, v2
	v_fmac_f32_e32 v6, v2, v13
	v_mul_lo_u16 v22, 0xcd, v3
	v_fmac_f32_e32 v7, v14, v2
	v_mul_lo_u16 v23, v24, 10
	ds_write_b64 v35, v[0:1] offset:2080
	ds_write_b64 v5, v[6:7] offset:3120
	v_lshrrev_b16 v25, 11, v22
	s_waitcnt lgkmcnt(0)
	s_barrier
	buffer_gl0_inv
	v_mul_lo_u16 v22, v25, 10
	s_barrier
	buffer_gl0_inv
	ds_read2_b64 v[0:3], v33 offset0:65 offset1:130
	ds_read2_b64 v[5:8], v11 offset0:67 offset1:132
	ds_read_b64 v[20:21], v35
	ds_read2_b64 v[12:15], v10 offset0:69 offset1:134
	ds_read2_b64 v[16:19], v16 offset0:71 offset1:136
	v_sub_nc_u16 v27, v32, v23
	v_sub_nc_u16 v48, v9, v22
	ds_read_b64 v[22:23], v33 offset:4680
	s_waitcnt lgkmcnt(0)
	s_barrier
	v_lshlrev_b32_sdwa v37, v26, v27 dst_sel:DWORD dst_unused:UNUSED_PAD src0_sel:DWORD src1_sel:BYTE_0
	buffer_gl0_inv
	v_sub_f32_e32 v41, v2, v7
	v_add_f32_e32 v9, v20, v2
	v_add_f32_e32 v38, v7, v14
	v_sub_f32_e32 v42, v18, v14
	v_add_f32_e32 v43, v2, v18
	v_sub_f32_e32 v44, v7, v2
	v_sub_f32_e32 v45, v14, v18
	v_add_f32_e32 v46, v21, v3
	v_add_f32_e32 v47, v8, v15
	v_add_f32_e32 v53, v0, v5
	v_add_f32_e32 v62, v12, v16
	v_add_f32_e32 v66, v13, v17
	v_sub_f32_e32 v50, v3, v8
	v_sub_f32_e32 v51, v19, v15
	v_add_f32_e32 v60, v6, v23
	v_sub_f32_e32 v39, v3, v19
	v_sub_f32_e32 v40, v8, v15
	v_sub_f32_e32 v49, v7, v14
	v_add_f32_e32 v52, v3, v19
	v_sub_f32_e32 v3, v8, v3
	;; [unrolled: 4-line block ×3, first 2 shown]
	v_add_f32_e32 v58, v1, v6
	v_sub_f32_e32 v5, v5, v22
	v_sub_f32_e32 v59, v6, v13
	;; [unrolled: 1-line block ×5, first 2 shown]
	v_add_f32_e32 v7, v9, v7
	v_add_f32_e32 v8, v46, v8
	;; [unrolled: 1-line block ×4, first 2 shown]
	v_fma_f32 v44, -0.5, v47, v21
	v_fma_f32 v38, -0.5, v38, v20
	;; [unrolled: 1-line block ×3, first 2 shown]
	v_add_f32_e32 v12, v53, v12
	v_fma_f32 v43, -0.5, v62, v0
	v_fma_f32 v47, -0.5, v66, v1
	v_add_f32_e32 v42, v50, v51
	v_fma_f32 v51, -0.5, v60, v1
	v_sub_f32_e32 v61, v15, v19
	v_sub_f32_e32 v63, v13, v17
	;; [unrolled: 1-line block ×4, first 2 shown]
	v_add_f32_e32 v1, v6, v69
	v_add_f32_e32 v6, v7, v14
	;; [unrolled: 1-line block ×4, first 2 shown]
	v_fmamk_f32 v12, v54, 0xbf737871, v43
	v_fmamk_f32 v15, v5, 0x3f737871, v47
	v_sub_f32_e32 v65, v16, v22
	v_fma_f32 v46, -0.5, v56, v0
	v_fmamk_f32 v16, v67, 0xbf737871, v51
	v_fmac_f32_e32 v51, 0x3f737871, v67
	v_fmac_f32_e32 v47, 0xbf737871, v5
	v_sub_f32_e32 v2, v2, v18
	v_fmac_f32_e32 v21, -0.5, v52
	v_add_f32_e32 v45, v55, v64
	v_add_f32_e32 v13, v58, v13
	;; [unrolled: 1-line block ×3, first 2 shown]
	v_fmamk_f32 v52, v39, 0xbf737871, v38
	v_fmac_f32_e32 v38, 0x3f737871, v39
	v_fmac_f32_e32 v12, 0xbf167918, v63
	v_fmac_f32_e32 v15, 0x3f167918, v67
	v_fmamk_f32 v14, v63, 0x3f737871, v46
	v_fmac_f32_e32 v46, 0xbf737871, v63
	v_fmac_f32_e32 v16, 0x3f167918, v5
	v_fmac_f32_e32 v51, 0xbf167918, v5
	;; [unrolled: 4-line block ×3, first 2 shown]
	v_fmamk_f32 v55, v2, 0x3f737871, v44
	v_fmamk_f32 v56, v49, 0xbf737871, v21
	v_fmac_f32_e32 v21, 0x3f737871, v49
	v_add_f32_e32 v13, v13, v17
	v_fmac_f32_e32 v52, 0xbf167918, v40
	v_fmac_f32_e32 v38, 0x3f167918, v40
	;; [unrolled: 1-line block ×4, first 2 shown]
	v_add_f32_e32 v0, v57, v65
	v_fmac_f32_e32 v14, 0xbf167918, v54
	v_fmac_f32_e32 v46, 0x3f167918, v54
	;; [unrolled: 1-line block ×12, first 2 shown]
	v_add_f32_e32 v2, v8, v22
	v_add_f32_e32 v8, v13, v23
	v_fmac_f32_e32 v52, 0x3e9e377a, v9
	v_fmac_f32_e32 v38, 0x3e9e377a, v9
	v_mul_f32_e32 v9, 0xbf167918, v15
	v_mul_f32_e32 v23, 0x3f167918, v12
	v_add_f32_e32 v3, v3, v61
	v_add_f32_e32 v7, v7, v19
	v_fmac_f32_e32 v14, 0x3e9e377a, v0
	v_fmac_f32_e32 v46, 0x3e9e377a, v0
	v_mul_f32_e32 v17, 0xbf737871, v16
	v_mul_f32_e32 v19, 0xbf737871, v51
	;; [unrolled: 1-line block ×4, first 2 shown]
	v_fmac_f32_e32 v44, 0xbf167918, v49
	v_fmac_f32_e32 v53, 0x3e9e377a, v41
	;; [unrolled: 1-line block ×4, first 2 shown]
	v_mul_f32_e32 v22, 0xbf167918, v47
	v_mul_f32_e32 v41, 0xbf4f1bbd, v47
	v_add_f32_e32 v6, v6, v18
	v_fmac_f32_e32 v55, 0x3e9e377a, v42
	v_fmac_f32_e32 v9, 0x3f4f1bbd, v12
	v_fmac_f32_e32 v23, 0x3f4f1bbd, v15
	v_fmac_f32_e32 v56, 0x3e9e377a, v3
	v_fmac_f32_e32 v21, 0x3e9e377a, v3
	v_fmac_f32_e32 v17, 0x3e9e377a, v14
	v_fmac_f32_e32 v19, 0xbe9e377a, v46
	v_fmac_f32_e32 v39, 0x3f737871, v14
	v_fmac_f32_e32 v40, 0x3f737871, v46
	v_fmac_f32_e32 v44, 0x3e9e377a, v42
	v_fmac_f32_e32 v22, 0xbf4f1bbd, v43
	v_fmac_f32_e32 v41, 0x3f167918, v43
	v_add_f32_e32 v0, v6, v2
	v_add_f32_e32 v1, v7, v8
	v_sub_f32_e32 v2, v6, v2
	v_add_f32_e32 v5, v52, v9
	v_add_f32_e32 v6, v55, v23
	v_sub_f32_e32 v3, v7, v8
	v_add_f32_e32 v7, v53, v17
	v_add_f32_e32 v12, v20, v19
	;; [unrolled: 1-line block ×6, first 2 shown]
	v_sub_f32_e32 v16, v52, v9
	v_sub_f32_e32 v18, v53, v17
	;; [unrolled: 1-line block ×8, first 2 shown]
	ds_write2_b64 v36, v[0:1], v[5:6] offset1:1
	ds_write2_b64 v36, v[7:8], v[12:13] offset0:2 offset1:3
	ds_write2_b64 v36, v[14:15], v[2:3] offset0:4 offset1:5
	;; [unrolled: 1-line block ×4, first 2 shown]
	v_lshlrev_b32_sdwa v0, v26, v48 dst_sel:DWORD dst_unused:UNUSED_PAD src0_sel:DWORD src1_sel:BYTE_0
	s_waitcnt lgkmcnt(0)
	s_barrier
	buffer_gl0_inv
	s_clause 0x3
	global_load_dwordx4 v[6:9], v37, s[12:13]
	global_load_dwordx4 v[12:15], v37, s[12:13] offset:16
	global_load_dwordx4 v[16:19], v0, s[12:13]
	global_load_dwordx4 v[20:23], v0, s[12:13] offset:16
	v_and_b32_e32 v26, 0xffff, v24
	v_add_nc_u32_e32 v24, 0x1000, v33
	v_mov_b32_e32 v5, 3
	ds_read2_b64 v[0:3], v33 offset0:65 offset1:130
	ds_read2_b64 v[36:39], v10 offset0:4 offset1:69
	v_and_b32_e32 v49, 0xffff, v25
	ds_read2_b64 v[40:43], v10 offset0:134 offset1:199
	v_mad_u32_u24 v50, 0x190, v26, 0
	ds_read2_b64 v[44:47], v24 offset0:8 offset1:73
	ds_read2_b32 v[25:26], v11 offset0:134 offset1:135
	v_lshlrev_b32_sdwa v27, v5, v27 dst_sel:DWORD dst_unused:UNUSED_PAD src0_sel:DWORD src1_sel:BYTE_0
	v_mad_u32_u24 v49, 0x190, v49, 0
	v_lshlrev_b32_sdwa v5, v5, v48 dst_sel:DWORD dst_unused:UNUSED_PAD src0_sel:DWORD src1_sel:BYTE_0
	v_add3_u32 v27, v50, v27, v4
	v_add3_u32 v48, v49, v5, v4
	ds_read_b64 v[4:5], v35
	s_waitcnt vmcnt(0) lgkmcnt(0)
	s_barrier
	buffer_gl0_inv
	v_mul_f32_e32 v51, v13, v41
	v_mul_f32_e32 v49, v7, v3
	;; [unrolled: 1-line block ×16, first 2 shown]
	v_fmac_f32_e32 v49, v6, v2
	v_fma_f32 v2, v6, v3, -v7
	v_fmac_f32_e32 v50, v8, v36
	v_fma_f32 v3, v8, v37, -v9
	v_fmac_f32_e32 v51, v12, v40
	v_fma_f32 v12, v12, v41, -v13
	v_fmac_f32_e32 v52, v14, v44
	v_fma_f32 v14, v14, v45, -v15
	v_fmac_f32_e32 v53, v16, v25
	v_fma_f32 v6, v26, v16, -v17
	v_fmac_f32_e32 v54, v38, v18
	v_fma_f32 v9, v39, v18, -v19
	v_fmac_f32_e32 v55, v42, v20
	v_fma_f32 v13, v43, v20, -v21
	v_fmac_f32_e32 v56, v46, v22
	v_fma_f32 v15, v47, v22, -v23
	v_add_f32_e32 v7, v4, v49
	v_add_f32_e32 v8, v50, v51
	v_sub_f32_e32 v18, v49, v50
	v_sub_f32_e32 v19, v52, v51
	v_add_f32_e32 v20, v49, v52
	v_add_f32_e32 v23, v5, v2
	;; [unrolled: 1-line block ×9, first 2 shown]
	v_sub_f32_e32 v16, v2, v14
	v_sub_f32_e32 v17, v3, v12
	v_sub_f32_e32 v21, v50, v49
	v_sub_f32_e32 v22, v51, v52
	v_sub_f32_e32 v26, v49, v52
	v_sub_f32_e32 v36, v50, v51
	v_sub_f32_e32 v37, v2, v3
	v_sub_f32_e32 v38, v14, v12
	v_sub_f32_e32 v2, v3, v2
	v_sub_f32_e32 v40, v12, v14
	v_add_f32_e32 v41, v0, v53
	v_sub_f32_e32 v43, v6, v15
	v_sub_f32_e32 v44, v9, v13
	;; [unrolled: 1-line block ×9, first 2 shown]
	v_add_f32_e32 v50, v7, v50
	v_fma_f32 v6, -0.5, v8, v4
	v_add_f32_e32 v66, v18, v19
	v_fma_f32 v4, -0.5, v20, v4
	;; [unrolled: 2-line block ×3, first 2 shown]
	v_fmac_f32_e32 v5, -0.5, v39
	v_fma_f32 v8, -0.5, v42, v0
	v_fma_f32 v0, -0.5, v47, v0
	v_add_f32_e32 v19, v58, v9
	v_fma_f32 v9, -0.5, v59, v1
	v_fmac_f32_e32 v1, -0.5, v63
	v_sub_f32_e32 v57, v55, v56
	v_sub_f32_e32 v62, v15, v13
	v_sub_f32_e32 v65, v13, v15
	v_add_f32_e32 v67, v21, v22
	v_add_f32_e32 v25, v37, v38
	v_add_f32_e32 v37, v2, v40
	v_add_f32_e32 v2, v41, v54
	v_add_f32_e32 v38, v45, v46
	v_fmamk_f32 v20, v16, 0xbf737871, v6
	v_fmac_f32_e32 v6, 0x3f737871, v16
	v_fmamk_f32 v22, v17, 0x3f737871, v4
	v_fmac_f32_e32 v4, 0xbf737871, v17
	v_add_f32_e32 v3, v3, v12
	v_fmamk_f32 v21, v26, 0x3f737871, v7
	v_fmac_f32_e32 v7, 0xbf737871, v26
	v_fmamk_f32 v23, v36, 0xbf737871, v5
	v_fmac_f32_e32 v5, 0x3f737871, v36
	;; [unrolled: 2-line block ×4, first 2 shown]
	v_add_f32_e32 v46, v19, v13
	v_fmamk_f32 v19, v53, 0x3f737871, v9
	v_fmac_f32_e32 v9, 0xbf737871, v53
	v_fmamk_f32 v13, v60, 0xbf737871, v1
	v_fmac_f32_e32 v1, 0x3f737871, v60
	v_add_f32_e32 v39, v49, v57
	v_add_f32_e32 v40, v61, v62
	;; [unrolled: 1-line block ×5, first 2 shown]
	v_fmac_f32_e32 v20, 0xbf167918, v17
	v_fmac_f32_e32 v6, 0x3f167918, v17
	;; [unrolled: 1-line block ×16, first 2 shown]
	v_add_f32_e32 v2, v42, v52
	v_add_f32_e32 v3, v3, v14
	;; [unrolled: 1-line block ×4, first 2 shown]
	v_fmac_f32_e32 v20, 0x3e9e377a, v66
	v_fmac_f32_e32 v6, 0x3e9e377a, v66
	;; [unrolled: 1-line block ×16, first 2 shown]
	ds_write2_b64 v27, v[2:3], v[20:21] offset1:10
	ds_write2_b64 v27, v[22:23], v[4:5] offset0:20 offset1:30
	ds_write_b64 v27, v[6:7] offset:320
	ds_write2_b64 v48, v[16:17], v[18:19] offset1:10
	ds_write2_b64 v48, v[12:13], v[0:1] offset0:20 offset1:30
	ds_write_b64 v48, v[8:9] offset:320
	s_waitcnt lgkmcnt(0)
	s_barrier
	buffer_gl0_inv
                                        ; implicit-def: $vgpr27
	s_and_saveexec_b32 s1, s0
	s_cbranch_execz .LBB0_20
; %bb.19:
	ds_read2_b64 v[12:15], v10 offset0:94 offset1:144
	ds_read_b64 v[2:3], v35
	ds_read2_b64 v[20:23], v33 offset0:50 offset1:100
	ds_read2_b64 v[4:7], v33 offset0:150 offset1:200
	;; [unrolled: 1-line block ×5, first 2 shown]
	s_waitcnt lgkmcnt(6)
	v_mov_b32_e32 v1, v15
	v_mov_b32_e32 v0, v14
.LBB0_20:
	s_or_b32 exec_lo, exec_lo, s1
	s_waitcnt lgkmcnt(0)
	s_barrier
	buffer_gl0_inv
	s_and_saveexec_b32 s1, s0
	s_cbranch_execz .LBB0_22
; %bb.21:
	v_subrev_nc_u32_e32 v14, 50, v32
	v_mov_b32_e32 v15, 0
	v_cndmask_b32_e64 v14, v14, v32, s0
	v_mul_i32_i24_e32 v14, 12, v14
	v_lshlrev_b64 v[14:15], 3, v[14:15]
	v_add_co_u32 v14, s0, s12, v14
	v_add_co_ci_u32_e64 v15, s0, s13, v15, s0
	s_clause 0x5
	global_load_dwordx4 v[46:49], v[14:15], off offset:320
	global_load_dwordx4 v[50:53], v[14:15], off offset:400
	;; [unrolled: 1-line block ×6, first 2 shown]
	s_waitcnt vmcnt(5)
	v_mul_f32_e32 v45, v20, v47
	v_mul_f32_e32 v47, v21, v47
	s_waitcnt vmcnt(4)
	v_mul_f32_e32 v71, v26, v53
	v_mul_f32_e32 v70, v22, v49
	;; [unrolled: 1-line block ×5, first 2 shown]
	s_waitcnt vmcnt(3)
	v_mul_f32_e32 v51, v10, v57
	v_mul_f32_e32 v36, v11, v57
	;; [unrolled: 1-line block ×4, first 2 shown]
	s_waitcnt vmcnt(1)
	v_mul_f32_e32 v55, v0, v65
	v_mul_f32_e32 v38, v1, v65
	;; [unrolled: 1-line block ×4, first 2 shown]
	v_fma_f32 v63, v21, v46, -v45
	v_fmac_f32_e32 v47, v20, v46
	v_fma_f32 v20, v27, v52, -v71
	v_mul_f32_e32 v44, v23, v49
	v_mul_f32_e32 v72, v4, v59
	v_fma_f32 v49, v23, v48, -v70
	v_fmac_f32_e32 v14, v26, v52
	v_fma_f32 v21, v25, v50, -v53
	v_add_f32_e32 v53, v63, v20
	v_mul_f32_e32 v42, v5, v59
	v_mul_f32_e32 v59, v6, v61
	s_waitcnt vmcnt(0)
	v_mul_f32_e32 v40, v19, v69
	v_fmac_f32_e32 v44, v22, v48
	v_fmac_f32_e32 v15, v24, v50
	v_fma_f32 v27, v5, v58, -v72
	v_fma_f32 v22, v11, v56, -v51
	;; [unrolled: 1-line block ×3, first 2 shown]
	v_fmac_f32_e32 v37, v8, v54
	v_fma_f32 v24, v1, v64, -v55
	v_sub_f32_e32 v5, v47, v14
	v_add_f32_e32 v54, v49, v21
	v_add_f32_e32 v9, v47, v14
	v_sub_f32_e32 v55, v63, v20
	v_add_f32_e32 v57, v3, v63
	v_add_f32_e32 v47, v2, v47
	v_mul_f32_e32 v70, 0xbf3f9e67, v53
	v_mul_f32_e32 v43, v7, v61
	;; [unrolled: 1-line block ×5, first 2 shown]
	v_fmac_f32_e32 v42, v4, v58
	v_fma_f32 v26, v7, v60, -v59
	v_fmac_f32_e32 v36, v10, v56
	v_fmac_f32_e32 v40, v18, v68
	v_sub_f32_e32 v4, v44, v15
	v_add_f32_e32 v18, v27, v22
	v_add_f32_e32 v8, v44, v15
	v_sub_f32_e32 v56, v49, v21
	v_mul_f32_e32 v58, 0xbf788fa5, v53
	v_mul_f32_e32 v71, 0x3df6dbef, v54
	;; [unrolled: 1-line block ×4, first 2 shown]
	v_add_f32_e32 v49, v57, v49
	v_add_f32_e32 v44, v47, v44
	v_fmamk_f32 v120, v5, 0x3f29c268, v70
	v_fmac_f32_e32 v43, v6, v60
	v_fma_f32 v25, v17, v66, -v61
	v_fma_f32 v17, v19, v68, -v67
	v_sub_f32_e32 v1, v42, v36
	v_add_f32_e32 v19, v26, v23
	v_add_f32_e32 v7, v42, v36
	v_sub_f32_e32 v45, v27, v22
	v_mul_f32_e32 v59, 0x3f62ad3f, v54
	v_mul_f32_e32 v60, 0xbe750f2a, v55
	;; [unrolled: 1-line block ×13, first 2 shown]
	v_fmamk_f32 v18, v5, 0x3e750f2a, v58
	v_fmamk_f32 v121, v4, 0xbf7e222b, v71
	;; [unrolled: 1-line block ×3, first 2 shown]
	v_add_f32_e32 v27, v49, v27
	v_add_f32_e32 v42, v44, v42
	v_fmamk_f32 v44, v5, 0x3f7e222b, v94
	v_add_f32_e32 v120, v3, v120
	v_fmac_f32_e32 v41, v16, v66
	v_fma_f32 v16, v13, v62, -v65
	v_fmac_f32_e32 v39, v12, v62
	v_sub_f32_e32 v46, v26, v23
	v_mul_f32_e32 v62, 0x3f116cb1, v19
	v_mul_f32_e32 v63, 0x3eedf032, v56
	v_mul_f32_e32 v76, 0xbf788fa5, v19
	v_mul_f32_e32 v83, 0xbf3f9e67, v54
	v_mul_f32_e32 v84, 0xbf6f5d39, v55
	v_mul_f32_e32 v88, 0x3df6dbef, v19
	v_mul_f32_e32 v97, 0xbe750f2a, v56
	v_mul_f32_e32 v100, 0x3f62ad3f, v19
	v_mul_f32_e32 v106, 0x3f116cb1, v53
	v_mul_f32_e32 v109, 0xbf6f5d39, v56
	v_mul_f32_e32 v55, 0xbeedf032, v55
	v_mul_f32_e32 v47, 0xbf3f9e67, v19
	v_mul_f32_e32 v117, 0xbeb58ec6, v19
	v_fmamk_f32 v19, v9, 0xbf788fa5, v60
	v_fmamk_f32 v118, v4, 0xbeedf032, v59
	;; [unrolled: 1-line block ×5, first 2 shown]
	v_add_f32_e32 v26, v27, v26
	v_fmamk_f32 v27, v9, 0x3df6dbef, v96
	v_add_f32_e32 v18, v3, v18
	v_add_f32_e32 v122, v2, v122
	;; [unrolled: 1-line block ×3, first 2 shown]
	v_fmamk_f32 v121, v9, 0x3f116cb1, v108
	v_add_f32_e32 v44, v3, v44
	v_fma_f32 v60, 0xbf788fa5, v9, -v60
	v_fma_f32 v72, 0xbf3f9e67, v9, -v72
	v_fmac_f32_e32 v82, 0xbf6f5d39, v5
	v_fmac_f32_e32 v38, v0, v64
	v_sub_f32_e32 v0, v43, v37
	v_add_f32_e32 v6, v43, v37
	v_mul_f32_e32 v64, 0xbf29c268, v45
	v_mul_f32_e32 v75, 0xbf52af12, v45
	;; [unrolled: 1-line block ×6, first 2 shown]
	v_fmamk_f32 v119, v8, 0x3f62ad3f, v63
	v_fmamk_f32 v125, v4, 0xbf29c268, v83
	;; [unrolled: 1-line block ×3, first 2 shown]
	v_add_f32_e32 v42, v42, v43
	v_fmamk_f32 v43, v8, 0xbf788fa5, v97
	v_add_f32_e32 v19, v2, v19
	v_add_f32_e32 v18, v118, v18
	v_fmamk_f32 v118, v5, 0x3f52af12, v106
	v_add_f32_e32 v124, v3, v124
	;; [unrolled: 3-line block ×3, first 2 shown]
	v_add_f32_e32 v44, v127, v44
	v_fmamk_f32 v127, v9, 0x3f62ad3f, v55
	v_fmac_f32_e32 v58, 0xbe750f2a, v5
	v_fmac_f32_e32 v70, 0xbf29c268, v5
	v_fma_f32 v63, 0x3f62ad3f, v8, -v63
	v_fma_f32 v73, 0x3df6dbef, v8, -v73
	;; [unrolled: 1-line block ×3, first 2 shown]
	v_fmac_f32_e32 v83, 0x3f29c268, v4
	v_add_f32_e32 v121, v2, v121
	v_fmac_f32_e32 v94, 0xbf7e222b, v5
	v_add_f32_e32 v60, v2, v60
	;; [unrolled: 2-line block ×3, first 2 shown]
	v_add_f32_e32 v82, v3, v82
	v_add_f32_e32 v48, v25, v24
	v_sub_f32_e32 v50, v25, v24
	v_mul_f32_e32 v65, 0x3f52af12, v46
	v_mul_f32_e32 v87, 0x3eedf032, v45
	v_mul_f32_e32 v99, 0x3f6f5d39, v45
	v_mul_f32_e32 v111, 0xbe750f2a, v45
	v_mul_f32_e32 v54, 0x3f116cb1, v54
	v_mul_f32_e32 v45, 0xbf7e222b, v45
	v_fmamk_f32 v126, v8, 0xbf3f9e67, v85
	v_add_f32_e32 v19, v119, v19
	v_fmamk_f32 v119, v4, 0x3f6f5d39, v107
	v_add_f32_e32 v49, v2, v49
	v_add_f32_e32 v124, v125, v124
	v_fmamk_f32 v125, v5, 0x3eedf032, v53
	v_add_f32_e32 v27, v43, v27
	v_fmamk_f32 v43, v8, 0x3f116cb1, v56
	v_fmac_f32_e32 v59, 0x3eedf032, v4
	v_fmac_f32_e32 v71, 0x3f7e222b, v4
	v_add_f32_e32 v118, v3, v118
	v_fma_f32 v85, 0xbf3f9e67, v8, -v85
	v_add_f32_e32 v127, v2, v127
	v_add_f32_e32 v121, v123, v121
	v_fmamk_f32 v123, v7, 0xbf3f9e67, v64
	v_add_f32_e32 v58, v3, v58
	v_fmac_f32_e32 v95, 0xbe750f2a, v4
	v_fmac_f32_e32 v107, 0xbf6f5d39, v4
	v_add_f32_e32 v70, v3, v70
	v_add_f32_e32 v60, v63, v60
	;; [unrolled: 1-line block ×4, first 2 shown]
	v_fmamk_f32 v73, v1, 0x3f52af12, v74
	v_add_f32_e32 v82, v83, v82
	v_fmamk_f32 v83, v7, 0x3f116cb1, v75
	v_add_f32_e32 v25, v26, v25
	v_add_f32_e32 v94, v3, v94
	;; [unrolled: 1-line block ×3, first 2 shown]
	v_fma_f32 v64, 0xbf3f9e67, v7, -v64
	v_sub_f32_e32 v10, v41, v38
	v_add_f32_e32 v11, v41, v38
	v_add_f32_e32 v51, v17, v16
	v_sub_f32_e32 v52, v17, v16
	v_mul_f32_e32 v67, 0xbf6f5d39, v50
	v_mul_f32_e32 v77, 0x3e750f2a, v46
	;; [unrolled: 1-line block ×6, first 2 shown]
	v_add_f32_e32 v49, v126, v49
	v_fmamk_f32 v126, v4, 0x3f52af12, v54
	v_add_f32_e32 v118, v119, v118
	v_fmamk_f32 v119, v1, 0x3f29c268, v61
	v_add_f32_e32 v125, v3, v125
	v_add_f32_e32 v43, v43, v127
	v_fmamk_f32 v127, v6, 0x3f116cb1, v65
	v_add_f32_e32 v58, v59, v58
	v_fma_f32 v96, 0x3df6dbef, v9, -v96
	v_add_f32_e32 v70, v71, v70
	v_add_f32_e32 v84, v85, v84
	v_fmamk_f32 v85, v1, 0xbeedf032, v86
	v_add_f32_e32 v41, v42, v41
	v_fmamk_f32 v42, v1, 0xbf6f5d39, v98
	v_add_f32_e32 v94, v95, v94
	v_add_f32_e32 v106, v107, v106
	v_fmamk_f32 v107, v7, 0xbf788fa5, v111
	v_add_f32_e32 v73, v73, v120
	v_fmamk_f32 v120, v7, 0x3df6dbef, v45
	v_fmac_f32_e32 v61, 0xbf29c268, v1
	v_add_f32_e32 v83, v83, v122
	v_fmamk_f32 v122, v0, 0xbe750f2a, v76
	v_fmac_f32_e32 v74, 0xbf52af12, v1
	v_fma_f32 v75, 0x3f116cb1, v7, -v75
	v_fmac_f32_e32 v86, 0x3eedf032, v1
	v_fmac_f32_e32 v98, 0x3f6f5d39, v1
	v_add_f32_e32 v60, v64, v60
	v_add_f32_e32 v17, v25, v17
	v_fma_f32 v65, 0x3f116cb1, v6, -v65
	v_sub_f32_e32 v12, v40, v39
	v_add_f32_e32 v13, v40, v39
	v_mul_f32_e32 v66, 0xbeb58ec6, v48
	v_mul_f32_e32 v79, 0x3eedf032, v50
	;; [unrolled: 1-line block ×8, first 2 shown]
	v_add_f32_e32 v125, v126, v125
	v_fmamk_f32 v126, v0, 0xbf52af12, v62
	v_fma_f32 v97, 0xbf788fa5, v8, -v97
	v_fmamk_f32 v63, v11, 0xbeb58ec6, v67
	v_fmamk_f32 v26, v7, 0x3f62ad3f, v87
	v_add_f32_e32 v96, v2, v96
	v_fmamk_f32 v95, v7, 0xbeb58ec6, v99
	v_add_f32_e32 v18, v119, v18
	v_add_f32_e32 v19, v123, v19
	;; [unrolled: 1-line block ×3, first 2 shown]
	v_fmamk_f32 v124, v6, 0xbf788fa5, v77
	v_add_f32_e32 v42, v42, v44
	v_fma_f32 v87, 0x3f62ad3f, v7, -v87
	v_add_f32_e32 v107, v107, v121
	v_fmamk_f32 v121, v0, 0x3f7e222b, v88
	v_add_f32_e32 v43, v120, v43
	v_add_f32_e32 v58, v61, v58
	;; [unrolled: 1-line block ×4, first 2 shown]
	v_fmamk_f32 v75, v0, 0xbeedf032, v100
	v_add_f32_e32 v82, v86, v82
	v_add_f32_e32 v40, v41, v40
	;; [unrolled: 1-line block ×3, first 2 shown]
	v_fmamk_f32 v98, v6, 0xbf3f9e67, v57
	v_add_f32_e32 v73, v122, v73
	v_fmamk_f32 v122, v6, 0xbeb58ec6, v46
	v_fmac_f32_e32 v62, 0x3f52af12, v0
	v_fmac_f32_e32 v76, 0x3e750f2a, v0
	v_fma_f32 v77, 0xbf788fa5, v6, -v77
	v_fmac_f32_e32 v88, 0xbf7e222b, v0
	v_fma_f32 v67, 0xbeb58ec6, v11, -v67
	v_add_f32_e32 v60, v65, v60
	v_add_f32_e32 v16, v17, v16
	v_mul_f32_e32 v68, 0x3df6dbef, v51
	v_mul_f32_e32 v69, 0x3f7e222b, v52
	;; [unrolled: 1-line block ×9, first 2 shown]
	v_fmamk_f32 v59, v10, 0x3f6f5d39, v66
	v_add_f32_e32 v96, v97, v96
	v_fmamk_f32 v97, v1, 0x3e750f2a, v110
	v_fmamk_f32 v119, v1, 0x3f7e222b, v116
	v_fmamk_f32 v44, v11, 0x3f62ad3f, v79
	v_add_f32_e32 v27, v95, v27
	v_fmamk_f32 v120, v10, 0xbe750f2a, v90
	v_fmamk_f32 v86, v6, 0x3f62ad3f, v101
	v_add_f32_e32 v84, v87, v84
	v_fmamk_f32 v87, v10, 0x3f52af12, v102
	v_add_f32_e32 v18, v126, v18
	v_add_f32_e32 v19, v127, v19
	;; [unrolled: 1-line block ×5, first 2 shown]
	v_fmamk_f32 v107, v11, 0xbf3f9e67, v50
	v_add_f32_e32 v43, v122, v43
	v_fma_f32 v79, 0x3f62ad3f, v11, -v79
	v_fmac_f32_e32 v90, 0x3e750f2a, v10
	v_add_f32_e32 v58, v62, v58
	v_add_f32_e32 v62, v76, v70
	;; [unrolled: 1-line block ×7, first 2 shown]
	v_mul_f32_e32 v92, 0x3f116cb1, v51
	v_fmamk_f32 v71, v12, 0xbf7e222b, v68
	v_add_f32_e32 v26, v26, v49
	v_fmamk_f32 v49, v10, 0xbeedf032, v78
	v_add_f32_e32 v97, v97, v118
	;; [unrolled: 2-line block ×3, first 2 shown]
	v_fmamk_f32 v125, v6, 0x3df6dbef, v89
	v_fmamk_f32 v25, v11, 0x3f116cb1, v103
	;; [unrolled: 1-line block ×3, first 2 shown]
	v_add_f32_e32 v85, v121, v85
	v_add_f32_e32 v27, v86, v27
	v_fmamk_f32 v122, v13, 0xbf788fa5, v52
	v_add_f32_e32 v18, v59, v18
	v_add_f32_e32 v19, v63, v19
	;; [unrolled: 1-line block ×9, first 2 shown]
	v_fmamk_f32 v61, v11, 0xbf788fa5, v91
	v_fmamk_f32 v64, v12, 0xbf52af12, v92
	v_add_f32_e32 v26, v125, v26
	v_add_f32_e32 v39, v49, v73
	;; [unrolled: 1-line block ×10, first 2 shown]
	v_fmamk_f32 v74, v13, 0x3f116cb1, v93
	v_fmamk_f32 v124, v13, 0xbf3f9e67, v105
	v_fma_f32 v99, 0xbeb58ec6, v7, -v99
	v_fmac_f32_e32 v110, 0xbe750f2a, v1
	v_add_f32_e32 v26, v61, v26
	v_add_f32_e32 v25, v64, v44
	;; [unrolled: 1-line block ×4, first 2 shown]
	v_mul_f32_e32 v112, 0x3df6dbef, v48
	v_fmamk_f32 v41, v0, 0xbf29c268, v47
	v_add_f32_e32 v24, v74, v26
	v_add_f32_e32 v26, v124, v49
	;; [unrolled: 1-line block ×5, first 2 shown]
	v_fma_f32 v21, 0x3f62ad3f, v6, -v101
	v_add_f32_e32 v49, v110, v106
	v_fmac_f32_e32 v47, 0x3f29c268, v0
	v_fmamk_f32 v121, v10, 0xbf7e222b, v112
	v_fmac_f32_e32 v112, 0x3f7e222b, v10
	v_add_f32_e32 v20, v21, v20
	v_fma_f32 v21, 0x3f116cb1, v11, -v103
	v_add_f32_e32 v47, v47, v49
	v_fmac_f32_e32 v53, 0xbeedf032, v5
	v_fma_f32 v49, 0xbeb58ec6, v8, -v109
	v_fmac_f32_e32 v54, 0xbf52af12, v4
	v_add_f32_e32 v20, v21, v20
	v_add_f32_e32 v21, v112, v47
	v_fma_f32 v47, 0x3f116cb1, v9, -v108
	v_fma_f32 v9, 0x3f62ad3f, v9, -v55
	;; [unrolled: 1-line block ×3, first 2 shown]
	v_fmac_f32_e32 v66, 0xbf6f5d39, v10
	v_add_f32_e32 v3, v3, v53
	v_add_f32_e32 v47, v2, v47
	;; [unrolled: 1-line block ×3, first 2 shown]
	v_fma_f32 v9, 0xbf788fa5, v7, -v111
	v_fmac_f32_e32 v116, 0xbf7e222b, v1
	v_fmac_f32_e32 v68, 0x3f7e222b, v12
	v_add_f32_e32 v8, v49, v47
	v_add_f32_e32 v1, v4, v2
	v_fma_f32 v2, 0x3df6dbef, v7, -v45
	v_add_f32_e32 v58, v66, v58
	v_fmac_f32_e32 v100, 0x3eedf032, v0
	v_add_f32_e32 v3, v54, v3
	v_mul_f32_e32 v48, 0xbf3f9e67, v48
	v_fmamk_f32 v126, v0, 0x3f6f5d39, v117
	v_add_f32_e32 v4, v9, v8
	v_fma_f32 v7, 0xbf3f9e67, v6, -v57
	v_fmac_f32_e32 v117, 0xbf6f5d39, v0
	v_add_f32_e32 v0, v2, v1
	v_fma_f32 v1, 0xbeb58ec6, v6, -v46
	v_fma_f32 v89, 0x3df6dbef, v6, -v89
	v_add_f32_e32 v23, v68, v58
	v_add_f32_e32 v58, v100, v94
	v_fmac_f32_e32 v102, 0xbf52af12, v10
	v_add_f32_e32 v3, v116, v3
	v_mul_f32_e32 v80, 0xbeb58ec6, v51
	v_mul_f32_e32 v114, 0x3f62ad3f, v51
	;; [unrolled: 1-line block ×3, first 2 shown]
	v_fmamk_f32 v125, v11, 0x3df6dbef, v113
	v_add_f32_e32 v41, v41, v97
	v_fmamk_f32 v97, v10, 0x3f29c268, v48
	v_add_f32_e32 v119, v126, v119
	v_add_f32_e32 v2, v7, v4
	v_fma_f32 v4, 0x3df6dbef, v11, -v113
	v_fmac_f32_e32 v78, 0x3eedf032, v10
	v_add_f32_e32 v0, v1, v0
	v_fma_f32 v1, 0xbf3f9e67, v11, -v50
	v_fma_f32 v91, 0xbf788fa5, v11, -v91
	v_add_f32_e32 v72, v89, v84
	v_add_f32_e32 v14, v44, v14
	;; [unrolled: 1-line block ×3, first 2 shown]
	v_fmac_f32_e32 v104, 0xbf29c268, v12
	v_add_f32_e32 v3, v117, v3
	v_fmac_f32_e32 v48, 0xbf29c268, v10
	v_fmamk_f32 v123, v13, 0x3df6dbef, v69
	v_fmamk_f32 v95, v12, 0x3f6f5d39, v80
	;; [unrolled: 1-line block ×5, first 2 shown]
	v_add_f32_e32 v41, v121, v41
	v_add_f32_e32 v59, v125, v98
	v_add_f32_e32 v61, v97, v119
	v_add_f32_e32 v2, v4, v2
	v_fma_f32 v6, 0x3f62ad3f, v13, -v115
	v_fma_f32 v69, 0x3df6dbef, v13, -v69
	v_fmac_f32_e32 v80, 0xbf6f5d39, v12
	v_fma_f32 v81, 0xbeb58ec6, v13, -v81
	v_add_f32_e32 v62, v78, v62
	v_add_f32_e32 v7, v1, v0
	v_fma_f32 v8, 0xbf788fa5, v13, -v52
	v_fmac_f32_e32 v92, 0x3f52af12, v12
	v_fma_f32 v93, 0x3f116cb1, v13, -v93
	v_add_f32_e32 v66, v91, v72
	v_add_f32_e32 v5, v104, v44
	v_fma_f32 v44, 0xbf3f9e67, v13, -v105
	v_fmac_f32_e32 v114, 0x3eedf032, v12
	v_add_f32_e32 v3, v48, v3
	v_fmac_f32_e32 v51, 0xbe750f2a, v12
	v_add_f32_e32 v16, v123, v19
	v_add_f32_e32 v19, v95, v39
	v_add_f32_e32 v39, v75, v41
	v_add_f32_e32 v38, v86, v59
	v_add_f32_e32 v41, v126, v61
	v_add_f32_e32 v0, v6, v2
	v_add_nc_u32_e32 v6, 0x400, v33
	v_add_f32_e32 v22, v69, v60
	v_add_f32_e32 v37, v80, v62
	;; [unrolled: 1-line block ×4, first 2 shown]
	v_add_nc_u32_e32 v7, 0x800, v33
	v_add_f32_e32 v43, v92, v65
	v_add_f32_e32 v42, v93, v66
	;; [unrolled: 1-line block ×5, first 2 shown]
	v_add_nc_u32_e32 v8, 0x1000, v33
	ds_write_b64 v35, v[14:15]
	ds_write2_b64 v33, v[40:41], v[38:39] offset0:50 offset1:100
	ds_write2_b64 v33, v[26:27], v[24:25] offset0:150 offset1:200
	ds_write2_b64 v6, v[18:19], v[16:17] offset0:122 offset1:172
	ds_write2_b64 v7, v[22:23], v[36:37] offset0:94 offset1:144
	ds_write2_b64 v7, v[42:43], v[4:5] offset0:194 offset1:244
	ds_write2_b64 v8, v[0:1], v[2:3] offset0:38 offset1:88
.LBB0_22:
	s_or_b32 exec_lo, exec_lo, s1
	s_waitcnt lgkmcnt(0)
	s_barrier
	buffer_gl0_inv
	s_and_saveexec_b32 s0, vcc_lo
	s_cbranch_execz .LBB0_24
; %bb.23:
	v_mul_lo_u32 v2, s3, v30
	v_mul_lo_u32 v3, s2, v31
	v_mad_u64_u32 v[0:1], null, s2, v30, 0
	v_lshl_add_u32 v20, v32, 3, v34
	v_mov_b32_e32 v33, 0
	v_lshlrev_b64 v[4:5], 3, v[28:29]
	v_add_nc_u32_e32 v6, 0x41, v32
	v_add_nc_u32_e32 v8, 0x82, v32
	;; [unrolled: 1-line block ×3, first 2 shown]
	v_add3_u32 v1, v1, v3, v2
	v_lshlrev_b64 v[13:14], 3, v[32:33]
	v_mov_b32_e32 v7, v33
	v_mov_b32_e32 v9, v33
	v_add_nc_u32_e32 v23, 0x800, v20
	v_lshlrev_b64 v[11:12], 3, v[0:1]
	ds_read2_b64 v[0:3], v20 offset1:65
	v_add_nc_u32_e32 v16, 0x104, v32
	v_mov_b32_e32 v17, v33
	v_add_nc_u32_e32 v18, 0x145, v32
	v_mov_b32_e32 v19, v33
	v_add_co_u32 v15, vcc_lo, s10, v11
	v_add_co_ci_u32_e32 v12, vcc_lo, s11, v12, vcc_lo
	v_mov_b32_e32 v11, v33
	v_add_co_u32 v21, vcc_lo, v15, v4
	v_add_co_ci_u32_e32 v22, vcc_lo, v12, v5, vcc_lo
	v_lshlrev_b64 v[4:5], 3, v[6:7]
	v_add_co_u32 v6, vcc_lo, v21, v13
	v_add_co_ci_u32_e32 v7, vcc_lo, v22, v14, vcc_lo
	v_lshlrev_b64 v[14:15], 3, v[10:11]
	v_add_co_u32 v12, vcc_lo, v21, v4
	v_add_co_ci_u32_e32 v13, vcc_lo, v22, v5, vcc_lo
	s_waitcnt lgkmcnt(0)
	global_store_dwordx2 v[6:7], v[0:1], off
	ds_read2_b64 v[4:7], v20 offset0:130 offset1:195
	v_lshlrev_b64 v[0:1], 3, v[8:9]
	ds_read2_b64 v[8:11], v23 offset0:4 offset1:69
	v_lshlrev_b64 v[16:17], 3, v[16:17]
	v_add_co_u32 v0, vcc_lo, v21, v0
	v_add_co_ci_u32_e32 v1, vcc_lo, v22, v1, vcc_lo
	v_add_co_u32 v14, vcc_lo, v21, v14
	v_add_co_ci_u32_e32 v15, vcc_lo, v22, v15, vcc_lo
	;; [unrolled: 2-line block ×3, first 2 shown]
	global_store_dwordx2 v[12:13], v[2:3], off
	s_waitcnt lgkmcnt(1)
	global_store_dwordx2 v[0:1], v[4:5], off
	global_store_dwordx2 v[14:15], v[6:7], off
	s_waitcnt lgkmcnt(0)
	global_store_dwordx2 v[16:17], v[8:9], off
	v_lshlrev_b64 v[0:1], 3, v[18:19]
	v_add_nc_u32_e32 v4, 0x186, v32
	v_mov_b32_e32 v5, v33
	v_add_nc_u32_e32 v6, 0x1c7, v32
	v_mov_b32_e32 v7, v33
	v_add_nc_u32_e32 v18, 0x1000, v20
	v_add_co_u32 v8, vcc_lo, v21, v0
	v_add_co_ci_u32_e32 v9, vcc_lo, v22, v1, vcc_lo
	ds_read2_b64 v[0:3], v23 offset0:134 offset1:199
	v_lshlrev_b64 v[12:13], 3, v[4:5]
	v_lshlrev_b64 v[14:15], 3, v[6:7]
	v_add_nc_u32_e32 v16, 0x208, v32
	v_mov_b32_e32 v17, v33
	ds_read2_b64 v[4:7], v18 offset0:8 offset1:73
	v_add_nc_u32_e32 v32, 0x249, v32
	v_add_co_u32 v12, vcc_lo, v21, v12
	v_lshlrev_b64 v[16:17], 3, v[16:17]
	v_add_co_ci_u32_e32 v13, vcc_lo, v22, v13, vcc_lo
	v_add_co_u32 v14, vcc_lo, v21, v14
	v_lshlrev_b64 v[18:19], 3, v[32:33]
	v_add_co_ci_u32_e32 v15, vcc_lo, v22, v15, vcc_lo
	v_add_co_u32 v16, vcc_lo, v21, v16
	v_add_co_ci_u32_e32 v17, vcc_lo, v22, v17, vcc_lo
	v_add_co_u32 v18, vcc_lo, v21, v18
	v_add_co_ci_u32_e32 v19, vcc_lo, v22, v19, vcc_lo
	global_store_dwordx2 v[8:9], v[10:11], off
	s_waitcnt lgkmcnt(1)
	global_store_dwordx2 v[12:13], v[0:1], off
	global_store_dwordx2 v[14:15], v[2:3], off
	s_waitcnt lgkmcnt(0)
	global_store_dwordx2 v[16:17], v[4:5], off
	global_store_dwordx2 v[18:19], v[6:7], off
.LBB0_24:
	s_endpgm
	.section	.rodata,"a",@progbits
	.p2align	6, 0x0
	.amdhsa_kernel fft_rtc_back_len650_factors_10_5_13_wgs_195_tpt_65_sp_op_CI_CI_unitstride_sbrr_C2R_dirReg
		.amdhsa_group_segment_fixed_size 0
		.amdhsa_private_segment_fixed_size 0
		.amdhsa_kernarg_size 104
		.amdhsa_user_sgpr_count 6
		.amdhsa_user_sgpr_private_segment_buffer 1
		.amdhsa_user_sgpr_dispatch_ptr 0
		.amdhsa_user_sgpr_queue_ptr 0
		.amdhsa_user_sgpr_kernarg_segment_ptr 1
		.amdhsa_user_sgpr_dispatch_id 0
		.amdhsa_user_sgpr_flat_scratch_init 0
		.amdhsa_user_sgpr_private_segment_size 0
		.amdhsa_wavefront_size32 1
		.amdhsa_uses_dynamic_stack 0
		.amdhsa_system_sgpr_private_segment_wavefront_offset 0
		.amdhsa_system_sgpr_workgroup_id_x 1
		.amdhsa_system_sgpr_workgroup_id_y 0
		.amdhsa_system_sgpr_workgroup_id_z 0
		.amdhsa_system_sgpr_workgroup_info 0
		.amdhsa_system_vgpr_workitem_id 0
		.amdhsa_next_free_vgpr 128
		.amdhsa_next_free_sgpr 27
		.amdhsa_reserve_vcc 1
		.amdhsa_reserve_flat_scratch 0
		.amdhsa_float_round_mode_32 0
		.amdhsa_float_round_mode_16_64 0
		.amdhsa_float_denorm_mode_32 3
		.amdhsa_float_denorm_mode_16_64 3
		.amdhsa_dx10_clamp 1
		.amdhsa_ieee_mode 1
		.amdhsa_fp16_overflow 0
		.amdhsa_workgroup_processor_mode 1
		.amdhsa_memory_ordered 1
		.amdhsa_forward_progress 0
		.amdhsa_shared_vgpr_count 0
		.amdhsa_exception_fp_ieee_invalid_op 0
		.amdhsa_exception_fp_denorm_src 0
		.amdhsa_exception_fp_ieee_div_zero 0
		.amdhsa_exception_fp_ieee_overflow 0
		.amdhsa_exception_fp_ieee_underflow 0
		.amdhsa_exception_fp_ieee_inexact 0
		.amdhsa_exception_int_div_zero 0
	.end_amdhsa_kernel
	.text
.Lfunc_end0:
	.size	fft_rtc_back_len650_factors_10_5_13_wgs_195_tpt_65_sp_op_CI_CI_unitstride_sbrr_C2R_dirReg, .Lfunc_end0-fft_rtc_back_len650_factors_10_5_13_wgs_195_tpt_65_sp_op_CI_CI_unitstride_sbrr_C2R_dirReg
                                        ; -- End function
	.section	.AMDGPU.csdata,"",@progbits
; Kernel info:
; codeLenInByte = 8488
; NumSgprs: 29
; NumVgprs: 128
; ScratchSize: 0
; MemoryBound: 0
; FloatMode: 240
; IeeeMode: 1
; LDSByteSize: 0 bytes/workgroup (compile time only)
; SGPRBlocks: 3
; VGPRBlocks: 15
; NumSGPRsForWavesPerEU: 29
; NumVGPRsForWavesPerEU: 128
; Occupancy: 8
; WaveLimiterHint : 1
; COMPUTE_PGM_RSRC2:SCRATCH_EN: 0
; COMPUTE_PGM_RSRC2:USER_SGPR: 6
; COMPUTE_PGM_RSRC2:TRAP_HANDLER: 0
; COMPUTE_PGM_RSRC2:TGID_X_EN: 1
; COMPUTE_PGM_RSRC2:TGID_Y_EN: 0
; COMPUTE_PGM_RSRC2:TGID_Z_EN: 0
; COMPUTE_PGM_RSRC2:TIDIG_COMP_CNT: 0
	.text
	.p2alignl 6, 3214868480
	.fill 48, 4, 3214868480
	.type	__hip_cuid_40a42e0f7d69f6b9,@object ; @__hip_cuid_40a42e0f7d69f6b9
	.section	.bss,"aw",@nobits
	.globl	__hip_cuid_40a42e0f7d69f6b9
__hip_cuid_40a42e0f7d69f6b9:
	.byte	0                               ; 0x0
	.size	__hip_cuid_40a42e0f7d69f6b9, 1

	.ident	"AMD clang version 19.0.0git (https://github.com/RadeonOpenCompute/llvm-project roc-6.4.0 25133 c7fe45cf4b819c5991fe208aaa96edf142730f1d)"
	.section	".note.GNU-stack","",@progbits
	.addrsig
	.addrsig_sym __hip_cuid_40a42e0f7d69f6b9
	.amdgpu_metadata
---
amdhsa.kernels:
  - .args:
      - .actual_access:  read_only
        .address_space:  global
        .offset:         0
        .size:           8
        .value_kind:     global_buffer
      - .offset:         8
        .size:           8
        .value_kind:     by_value
      - .actual_access:  read_only
        .address_space:  global
        .offset:         16
        .size:           8
        .value_kind:     global_buffer
      - .actual_access:  read_only
        .address_space:  global
        .offset:         24
        .size:           8
        .value_kind:     global_buffer
      - .actual_access:  read_only
        .address_space:  global
        .offset:         32
        .size:           8
        .value_kind:     global_buffer
      - .offset:         40
        .size:           8
        .value_kind:     by_value
      - .actual_access:  read_only
        .address_space:  global
        .offset:         48
        .size:           8
        .value_kind:     global_buffer
      - .actual_access:  read_only
        .address_space:  global
        .offset:         56
        .size:           8
        .value_kind:     global_buffer
      - .offset:         64
        .size:           4
        .value_kind:     by_value
      - .actual_access:  read_only
        .address_space:  global
        .offset:         72
        .size:           8
        .value_kind:     global_buffer
      - .actual_access:  read_only
        .address_space:  global
        .offset:         80
        .size:           8
        .value_kind:     global_buffer
      - .actual_access:  read_only
        .address_space:  global
        .offset:         88
        .size:           8
        .value_kind:     global_buffer
      - .actual_access:  write_only
        .address_space:  global
        .offset:         96
        .size:           8
        .value_kind:     global_buffer
    .group_segment_fixed_size: 0
    .kernarg_segment_align: 8
    .kernarg_segment_size: 104
    .language:       OpenCL C
    .language_version:
      - 2
      - 0
    .max_flat_workgroup_size: 195
    .name:           fft_rtc_back_len650_factors_10_5_13_wgs_195_tpt_65_sp_op_CI_CI_unitstride_sbrr_C2R_dirReg
    .private_segment_fixed_size: 0
    .sgpr_count:     29
    .sgpr_spill_count: 0
    .symbol:         fft_rtc_back_len650_factors_10_5_13_wgs_195_tpt_65_sp_op_CI_CI_unitstride_sbrr_C2R_dirReg.kd
    .uniform_work_group_size: 1
    .uses_dynamic_stack: false
    .vgpr_count:     128
    .vgpr_spill_count: 0
    .wavefront_size: 32
    .workgroup_processor_mode: 1
amdhsa.target:   amdgcn-amd-amdhsa--gfx1030
amdhsa.version:
  - 1
  - 2
...

	.end_amdgpu_metadata
